;; amdgpu-corpus repo=ROCm/rocFFT kind=compiled arch=gfx906 opt=O3
	.text
	.amdgcn_target "amdgcn-amd-amdhsa--gfx906"
	.amdhsa_code_object_version 6
	.protected	fft_rtc_fwd_len100_factors_5_5_4_wgs_100_tpt_25_half_op_CI_CI_sbrc_xy_z_diag_dirReg ; -- Begin function fft_rtc_fwd_len100_factors_5_5_4_wgs_100_tpt_25_half_op_CI_CI_sbrc_xy_z_diag_dirReg
	.globl	fft_rtc_fwd_len100_factors_5_5_4_wgs_100_tpt_25_half_op_CI_CI_sbrc_xy_z_diag_dirReg
	.p2align	8
	.type	fft_rtc_fwd_len100_factors_5_5_4_wgs_100_tpt_25_half_op_CI_CI_sbrc_xy_z_diag_dirReg,@function
fft_rtc_fwd_len100_factors_5_5_4_wgs_100_tpt_25_half_op_CI_CI_sbrc_xy_z_diag_dirReg: ; @fft_rtc_fwd_len100_factors_5_5_4_wgs_100_tpt_25_half_op_CI_CI_sbrc_xy_z_diag_dirReg
; %bb.0:
	s_load_dwordx8 s[8:15], s[4:5], 0x8
	v_mul_u32_u24_e32 v2, 0x290, v0
	v_lshrrev_b32_e32 v11, 16, v2
	v_mul_lo_u16_e32 v2, 0x64, v11
	v_sub_u16_e32 v5, v0, v2
	s_waitcnt lgkmcnt(0)
	s_load_dwordx4 s[0:3], s[10:11], 0x8
	v_mov_b32_e32 v4, 0
	s_waitcnt lgkmcnt(0)
	s_add_i32 s1, s2, -1
	s_lshr_b32 s1, s1, 2
	s_add_i32 s1, s1, 1
	s_mul_i32 s7, s1, s0
	v_cvt_f32_u32_e32 v1, s7
	s_load_dwordx4 s[0:3], s[12:13], 0x0
	s_load_dword s19, s[12:13], 0x10
	v_rcp_iflag_f32_e32 v1, v1
	v_mul_f32_e32 v1, 0x4f7ffffe, v1
	v_cvt_u32_f32_e32 v3, v1
	s_waitcnt lgkmcnt(0)
	v_mad_u64_u32 v[1:2], s[10:11], s0, v5, 0
	s_sub_i32 s0, 0, s7
	v_readfirstlane_b32 s3, v3
	s_mul_i32 s0, s0, s3
	s_mul_hi_u32 s0, s3, s0
	s_add_i32 s3, s3, s0
	s_mul_hi_u32 s0, s6, s3
	s_mul_i32 s3, s0, s7
	s_sub_i32 s3, s6, s3
	s_add_i32 s10, s0, 1
	s_sub_i32 s11, s3, s7
	s_cmp_ge_u32 s3, s7
	s_cselect_b32 s0, s10, s0
	s_cselect_b32 s3, s11, s3
	s_add_i32 s10, s0, 1
	s_cmp_ge_u32 s3, s7
	s_cselect_b32 s17, s10, s0
	s_mul_i32 s0, s17, s7
	s_sub_i32 s0, s6, s0
	s_mul_hi_u32 s3, s0, 0x51eb851f
	s_lshr_b32 s3, s3, 3
	s_mul_i32 s6, s3, 25
	s_sub_i32 s0, s0, s6
	s_add_i32 s3, s3, s0
	s_lshl_b32 s16, s0, 2
	s_mul_hi_u32 s0, s3, 0x51eb851f
	s_lshr_b32 s0, s0, 5
	s_mulk_i32 s0, 0x64
	s_sub_i32 s18, s3, s0
	s_mul_i32 s6, s16, s19
	s_mul_i32 s0, s18, s2
	s_lshl_b64 s[8:9], s[8:9], 3
	s_add_i32 s2, s0, s6
	s_add_u32 s6, s12, s8
	s_addc_u32 s7, s13, s9
	s_load_dwordx2 s[6:7], s[6:7], 0x0
	s_mov_b32 s3, 0
	s_load_dwordx2 s[10:11], s[4:5], 0x58
	s_waitcnt lgkmcnt(0)
	s_mul_i32 s0, s7, s17
	s_mul_hi_u32 s7, s6, s17
	s_add_i32 s13, s7, s0
	v_mad_u64_u32 v[2:3], s[0:1], s1, v5, v[2:3]
	s_mul_i32 s12, s6, s17
	s_add_u32 s6, s14, s8
	s_addc_u32 s7, s15, s9
	s_lshl_b64 s[0:1], s[12:13], 2
	s_add_u32 s8, s10, s0
	v_mul_lo_u32 v3, s19, v11
	s_addc_u32 s9, s11, s1
	s_lshl_b64 s[0:1], s[2:3], 2
	s_add_u32 s0, s8, s0
	v_lshlrev_b64 v[1:2], 2, v[1:2]
	s_addc_u32 s1, s9, s1
	v_mov_b32_e32 v6, s1
	v_add_co_u32_e32 v10, vcc, s0, v1
	v_addc_co_u32_e32 v12, vcc, v6, v2, vcc
	v_lshlrev_b64 v[1:2], 2, v[3:4]
	v_add_u32_e32 v3, s19, v3
	v_add_co_u32_e32 v1, vcc, v10, v1
	v_lshlrev_b64 v[6:7], 2, v[3:4]
	v_addc_co_u32_e32 v2, vcc, v12, v2, vcc
	v_add_u32_e32 v3, s19, v3
	v_add_co_u32_e32 v6, vcc, v10, v6
	v_lshlrev_b64 v[8:9], 2, v[3:4]
	v_addc_co_u32_e32 v7, vcc, v12, v7, vcc
	;; [unrolled: 4-line block ×3, first 2 shown]
	v_add_co_u32_e32 v3, vcc, v10, v3
	v_addc_co_u32_e32 v4, vcc, v12, v4, vcc
	global_load_dword v12, v[1:2], off
	global_load_dword v13, v[6:7], off
	;; [unrolled: 1-line block ×4, first 2 shown]
	v_lshrrev_b32_e32 v8, 2, v0
	v_and_b32_e32 v6, 3, v0
	v_lshl_add_u32 v10, v8, 4, 0
	v_lshlrev_b32_e32 v1, 2, v11
	v_lshlrev_b32_e32 v2, 4, v5
	v_lshl_add_u32 v7, v6, 2, v10
	v_add3_u32 v1, 0, v2, v1
	s_load_dwordx4 s[0:3], s[14:15], 0x0
	s_load_dwordx2 s[8:9], s[14:15], 0x10
	s_movk_i32 s10, 0x3b9c
	s_load_dwordx2 s[6:7], s[6:7], 0x0
	s_waitcnt lgkmcnt(0)
	s_mov_b32 s3, 0xbb9c
	s_movk_i32 s11, 0x38b4
	s_mov_b32 s9, 0xb8b4
	s_movk_i32 s12, 0x34f2
	s_waitcnt vmcnt(2)
	ds_write2_b32 v1, v12, v13 offset1:1
	s_waitcnt vmcnt(0)
	ds_write2_b32 v1, v14, v15 offset0:2 offset1:3
	s_waitcnt lgkmcnt(0)
	s_barrier
	ds_read2_b32 v[12:13], v7 offset1:80
	ds_read2_b32 v[14:15], v7 offset0:160 offset1:240
	ds_read_b32 v16, v7 offset:1280
	s_waitcnt lgkmcnt(0)
	s_barrier
	v_pk_add_f16 v1, v12, v13
	v_add_f16_e32 v2, v14, v15
	v_sub_f16_e32 v9, v16, v15
	v_sub_f16_e32 v11, v13, v14
	v_add_f16_e32 v17, v13, v16
	v_sub_f16_sdwa v3, v13, v16 dst_sel:DWORD dst_unused:UNUSED_PAD src0_sel:WORD_1 src1_sel:WORD_1
	v_sub_f16_sdwa v4, v14, v15 dst_sel:DWORD dst_unused:UNUSED_PAD src0_sel:WORD_1 src1_sel:WORD_1
	v_sub_f16_e32 v18, v15, v16
	v_sub_f16_e32 v19, v14, v13
	v_fma_f16 v2, v2, -0.5, v12
	v_add_f16_e32 v9, v11, v9
	v_fma_f16 v11, v17, -0.5, v12
	v_lshrrev_b32_e32 v21, 16, v12
	v_add_f16_e32 v12, v19, v18
	v_fma_f16 v17, v3, s10, v2
	v_fma_f16 v2, v3, s3, v2
	;; [unrolled: 1-line block ×4, first 2 shown]
	v_add_f16_sdwa v20, v14, v15 dst_sel:DWORD dst_unused:UNUSED_PAD src0_sel:WORD_1 src1_sel:WORD_1
	v_fma_f16 v17, v4, s11, v17
	v_fma_f16 v4, v4, s9, v2
	v_fma_f16 v18, v3, s11, v18
	v_fma_f16 v11, v3, s9, v11
	v_fma_f16 v2, v9, s12, v17
	v_fma_f16 v9, v9, s12, v4
	v_fma_f16 v3, v12, s12, v18
	v_fma_f16 v4, v12, s12, v11
	v_fma_f16 v12, v20, -0.5, v21
	v_sub_f16_e32 v17, v13, v16
	v_fma_f16 v11, v17, s3, v12
	v_sub_f16_e32 v18, v14, v15
	v_sub_f16_sdwa v19, v13, v14 dst_sel:DWORD dst_unused:UNUSED_PAD src0_sel:WORD_1 src1_sel:WORD_1
	v_sub_f16_sdwa v20, v16, v15 dst_sel:DWORD dst_unused:UNUSED_PAD src0_sel:WORD_1 src1_sel:WORD_1
	v_fma_f16 v12, v17, s10, v12
	v_fma_f16 v11, v18, s9, v11
	v_add_f16_e32 v19, v19, v20
	v_fma_f16 v12, v18, s11, v12
	v_fma_f16 v11, v19, s12, v11
	;; [unrolled: 1-line block ×3, first 2 shown]
	v_add_f16_sdwa v19, v13, v16 dst_sel:DWORD dst_unused:UNUSED_PAD src0_sel:WORD_1 src1_sel:WORD_1
	v_pk_add_f16 v1, v1, v14
	v_fma_f16 v19, v19, -0.5, v21
	v_pk_add_f16 v1, v1, v15
	v_fma_f16 v20, v18, s10, v19
	v_sub_f16_sdwa v13, v14, v13 dst_sel:DWORD dst_unused:UNUSED_PAD src0_sel:WORD_1 src1_sel:WORD_1
	v_sub_f16_sdwa v14, v15, v16 dst_sel:DWORD dst_unused:UNUSED_PAD src0_sel:WORD_1 src1_sel:WORD_1
	v_fma_f16 v15, v18, s3, v19
	v_fma_f16 v20, v17, s9, v20
	v_add_f16_e32 v14, v13, v14
	v_fma_f16 v15, v17, s11, v15
	s_movk_i32 s3, 0x50
	v_pk_add_f16 v1, v1, v16
	v_fma_f16 v13, v14, s12, v20
	v_fma_f16 v14, v14, s12, v15
	v_cmp_gt_u32_e32 vcc, s3, v0
	v_lshlrev_b32_e32 v15, 2, v6
	s_and_saveexec_b64 s[10:11], vcc
	s_cbranch_execz .LBB0_2
; %bb.1:
	v_lshlrev_b32_e32 v16, 6, v8
	s_mov_b32 s3, 0x5040100
	v_add3_u32 v10, v10, v16, v15
	v_perm_b32 v16, v11, v2, s3
	ds_write2_b32 v10, v1, v16 offset1:4
	v_perm_b32 v16, v13, v3, s3
	v_perm_b32 v17, v14, v4, s3
	ds_write2_b32 v10, v16, v17 offset0:8 offset1:12
	v_perm_b32 v16, v12, v9, s3
	ds_write_b32 v10, v16 offset:64
.LBB0_2:
	s_or_b64 exec, exec, s[10:11]
	s_load_dwordx2 s[10:11], s[4:5], 0x60
	s_load_dwordx2 s[12:13], s[4:5], 0x0
	v_lshrrev_b32_e32 v10, 16, v1
	s_waitcnt lgkmcnt(0)
	s_barrier
	s_and_saveexec_b64 s[4:5], vcc
	s_cbranch_execz .LBB0_4
; %bb.3:
	ds_read2_b32 v[1:2], v7 offset1:80
	ds_read2_b32 v[3:4], v7 offset0:160 offset1:240
	ds_read_b32 v9, v7 offset:1280
	ds_read_u16 v10, v7 offset:2
	s_waitcnt lgkmcnt(3)
	v_lshrrev_b32_e32 v11, 16, v2
	s_waitcnt lgkmcnt(2)
	v_lshrrev_b32_e32 v13, 16, v3
	v_lshrrev_b32_e32 v14, 16, v4
	s_waitcnt lgkmcnt(1)
	v_lshrrev_b32_e32 v12, 16, v9
.LBB0_4:
	s_or_b64 exec, exec, s[4:5]
	s_waitcnt lgkmcnt(0)
	s_barrier
	s_and_saveexec_b64 s[4:5], vcc
	s_cbranch_execz .LBB0_6
; %bb.5:
	v_mul_lo_u16_e32 v16, 52, v8
	v_lshrrev_b16_e32 v20, 8, v16
	v_mul_lo_u16_e32 v16, 5, v20
	v_sub_u16_e32 v21, v8, v16
	v_lshlrev_b16_e32 v16, 2, v21
	v_and_b32_e32 v16, 0xfc, v16
	v_lshlrev_b32_e32 v16, 2, v16
	global_load_dwordx4 v[16:19], v16, s[12:13]
	v_mov_b32_e32 v22, 4
	v_mad_legacy_u16 v20, v20, 25, v21
	v_lshlrev_b32_sdwa v20, v22, v20 dst_sel:DWORD dst_unused:UNUSED_PAD src0_sel:DWORD src1_sel:BYTE_0
	v_add3_u32 v15, 0, v20, v15
	s_mov_b32 s3, 0xbb9c
	s_movk_i32 s15, 0x3b9c
	s_movk_i32 s9, 0x38b4
	s_mov_b32 s19, 0xb8b4
	s_movk_i32 s14, 0x34f2
	s_waitcnt vmcnt(0)
	v_mul_f16_sdwa v20, v3, v17 dst_sel:DWORD dst_unused:UNUSED_PAD src0_sel:DWORD src1_sel:WORD_1
	v_mul_f16_sdwa v21, v2, v16 dst_sel:DWORD dst_unused:UNUSED_PAD src0_sel:DWORD src1_sel:WORD_1
	;; [unrolled: 1-line block ×5, first 2 shown]
	v_fma_f16 v11, v11, v16, v21
	v_mul_f16_sdwa v21, v12, v19 dst_sel:DWORD dst_unused:UNUSED_PAD src0_sel:DWORD src1_sel:WORD_1
	v_fma_f16 v20, v13, v17, v20
	v_mul_f16_sdwa v13, v13, v17 dst_sel:DWORD dst_unused:UNUSED_PAD src0_sel:DWORD src1_sel:WORD_1
	;; [unrolled: 2-line block ×3, first 2 shown]
	v_fma_f16 v12, v12, v19, v23
	v_fma_f16 v2, v2, v16, -v24
	v_fma_f16 v9, v9, v19, -v21
	;; [unrolled: 1-line block ×4, first 2 shown]
	v_sub_f16_e32 v13, v20, v11
	v_sub_f16_e32 v14, v22, v12
	v_sub_f16_e32 v19, v3, v2
	v_sub_f16_e32 v24, v4, v9
	v_add_f16_e32 v21, v2, v9
	v_add_f16_e32 v23, v3, v4
	;; [unrolled: 1-line block ×3, first 2 shown]
	v_sub_f16_e32 v14, v11, v20
	v_add_f16_e32 v19, v19, v24
	v_sub_f16_e32 v24, v12, v22
	v_sub_f16_e32 v16, v2, v9
	v_add_f16_e32 v17, v11, v12
	v_fma_f16 v21, v21, -0.5, v1
	v_fma_f16 v23, v23, -0.5, v1
	v_add_f16_e32 v1, v1, v2
	v_sub_f16_e32 v2, v2, v3
	v_add_f16_e32 v14, v14, v24
	v_sub_f16_e32 v24, v9, v4
	v_sub_f16_e32 v18, v3, v4
	v_add_f16_e32 v2, v2, v24
	v_add_f16_e32 v24, v20, v22
	v_fma_f16 v17, v17, -0.5, v10
	v_fma_f16 v24, v24, -0.5, v10
	v_add_f16_e32 v10, v10, v11
	v_sub_f16_e32 v11, v11, v12
	v_add_f16_e32 v1, v1, v3
	v_fma_f16 v3, v18, s3, v17
	v_fma_f16 v17, v18, s15, v17
	v_add_f16_e32 v10, v10, v20
	v_sub_f16_e32 v20, v20, v22
	v_add_f16_e32 v1, v1, v4
	v_fma_f16 v4, v16, s3, v24
	v_fma_f16 v24, v16, s15, v24
	;; [unrolled: 1-line block ×5, first 2 shown]
	v_add_f16_e32 v10, v10, v22
	v_fma_f16 v22, v20, s15, v21
	v_fma_f16 v21, v20, s3, v21
	;; [unrolled: 1-line block ×7, first 2 shown]
	v_add_f16_e32 v10, v10, v12
	v_add_f16_e32 v1, v1, v9
	v_fma_f16 v9, v18, s9, v24
	v_fma_f16 v12, v20, s19, v23
	;; [unrolled: 1-line block ×10, first 2 shown]
	v_pack_b32_f16 v1, v1, v10
	v_pack_b32_f16 v4, v16, v4
	;; [unrolled: 1-line block ×5, first 2 shown]
	ds_write2_b32 v15, v1, v4 offset1:20
	ds_write2_b32 v15, v10, v3 offset0:40 offset1:60
	ds_write_b32 v15, v2 offset:320
.LBB0_6:
	s_or_b64 exec, exec, s[4:5]
	v_mul_lo_u16_e32 v1, 21, v8
	v_lshrrev_b16_e32 v1, 9, v1
	v_mul_lo_u16_e32 v1, 25, v1
	v_sub_u16_e32 v4, v8, v1
	v_mov_b32_e32 v1, 3
	v_mul_u32_u24_sdwa v1, v4, v1 dst_sel:DWORD dst_unused:UNUSED_PAD src0_sel:BYTE_0 src1_sel:DWORD
	v_lshlrev_b32_e32 v1, 2, v1
	s_waitcnt lgkmcnt(0)
	s_barrier
	global_load_dwordx3 v[1:3], v1, s[12:13] offset:80
	v_or_b32_e32 v12, s16, v6
	s_mul_i32 s4, s18, s8
	s_mul_i32 s3, s7, s17
	s_mul_hi_u32 s7, s6, s17
	v_mad_u64_u32 v[10:11], s[8:9], s0, v12, 0
	s_mul_i32 s6, s6, s17
	s_add_i32 s7, s7, s3
	s_lshl_b64 s[6:7], s[6:7], 2
	s_mov_b32 s5, 0
	v_sub_u32_e32 v0, v0, v5
	s_add_u32 s0, s10, s6
	v_add_u32_sdwa v4, v0, v4 dst_sel:DWORD dst_unused:UNUSED_PAD src0_sel:DWORD src1_sel:BYTE_0
	s_addc_u32 s3, s11, s7
	s_lshl_b64 s[4:5], s[4:5], 2
	v_mov_b32_e32 v0, v11
	s_mul_i32 s12, s2, 25
	v_mul_lo_u32 v4, v4, s2
	s_add_u32 s2, s0, s4
	ds_read2_b32 v[8:9], v7 offset1:100
	v_add_u32_e32 v7, 0x200, v7
	v_mov_b32_e32 v5, 0
	ds_read2_b32 v[6:7], v7 offset0:72 offset1:172
	s_waitcnt lgkmcnt(1)
	v_lshrrev_b32_e32 v18, 16, v9
	v_lshrrev_b32_e32 v19, 16, v8
	s_waitcnt lgkmcnt(0)
	v_lshrrev_b32_e32 v20, 16, v6
	v_lshrrev_b32_e32 v21, 16, v7
	s_waitcnt vmcnt(0)
	v_mad_u64_u32 v[11:12], s[0:1], s1, v12, v[0:1]
	s_addc_u32 s0, s3, s5
	v_mov_b32_e32 v0, s0
	v_lshlrev_b64 v[10:11], 2, v[10:11]
	v_lshlrev_b64 v[12:13], 2, v[4:5]
	v_add_co_u32_e32 v22, vcc, s2, v10
	v_add_u32_e32 v4, s12, v4
	v_addc_co_u32_e32 v23, vcc, v0, v11, vcc
	v_lshlrev_b64 v[14:15], 2, v[4:5]
	v_add_co_u32_e32 v10, vcc, v22, v12
	v_addc_co_u32_e32 v11, vcc, v23, v13, vcc
	v_add_co_u32_e32 v12, vcc, v22, v14
	v_addc_co_u32_e32 v13, vcc, v23, v15, vcc
	v_mul_f16_sdwa v0, v1, v18 dst_sel:DWORD dst_unused:UNUSED_PAD src0_sel:WORD_1 src1_sel:DWORD
	v_mul_f16_sdwa v14, v1, v9 dst_sel:DWORD dst_unused:UNUSED_PAD src0_sel:WORD_1 src1_sel:DWORD
	;; [unrolled: 1-line block ×6, first 2 shown]
	v_fma_f16 v0, v1, v9, -v0
	v_fma_f16 v1, v1, v18, v14
	v_fma_f16 v6, v2, v6, -v15
	v_fma_f16 v2, v2, v20, v24
	;; [unrolled: 2-line block ×3, first 2 shown]
	v_sub_f16_e32 v6, v8, v6
	v_sub_f16_e32 v2, v19, v2
	;; [unrolled: 1-line block ×4, first 2 shown]
	v_fma_f16 v8, v8, 2.0, -v6
	v_fma_f16 v9, v19, 2.0, -v2
	;; [unrolled: 1-line block ×4, first 2 shown]
	v_add_u32_e32 v4, s12, v4
	v_sub_f16_e32 v3, v6, v3
	v_add_f16_e32 v7, v2, v7
	v_sub_f16_e32 v14, v8, v0
	v_sub_f16_e32 v15, v9, v1
	v_lshlrev_b64 v[16:17], 2, v[4:5]
	v_fma_f16 v0, v6, 2.0, -v3
	v_fma_f16 v1, v2, 2.0, -v7
	;; [unrolled: 1-line block ×4, first 2 shown]
	v_pack_b32_f16 v0, v0, v1
	v_pack_b32_f16 v1, v2, v6
	global_store_dword v[10:11], v1, off
	global_store_dword v[12:13], v0, off
	v_add_co_u32_e32 v0, vcc, v22, v16
	v_addc_co_u32_e32 v1, vcc, v23, v17, vcc
	v_pack_b32_f16 v2, v14, v15
	v_add_u32_e32 v4, s12, v4
	global_store_dword v[0:1], v2, off
	v_lshlrev_b64 v[0:1], 2, v[4:5]
	v_pack_b32_f16 v2, v3, v7
	v_add_co_u32_e32 v0, vcc, v22, v0
	v_addc_co_u32_e32 v1, vcc, v23, v1, vcc
	global_store_dword v[0:1], v2, off
	s_endpgm
	.section	.rodata,"a",@progbits
	.p2align	6, 0x0
	.amdhsa_kernel fft_rtc_fwd_len100_factors_5_5_4_wgs_100_tpt_25_half_op_CI_CI_sbrc_xy_z_diag_dirReg
		.amdhsa_group_segment_fixed_size 0
		.amdhsa_private_segment_fixed_size 0
		.amdhsa_kernarg_size 104
		.amdhsa_user_sgpr_count 6
		.amdhsa_user_sgpr_private_segment_buffer 1
		.amdhsa_user_sgpr_dispatch_ptr 0
		.amdhsa_user_sgpr_queue_ptr 0
		.amdhsa_user_sgpr_kernarg_segment_ptr 1
		.amdhsa_user_sgpr_dispatch_id 0
		.amdhsa_user_sgpr_flat_scratch_init 0
		.amdhsa_user_sgpr_private_segment_size 0
		.amdhsa_uses_dynamic_stack 0
		.amdhsa_system_sgpr_private_segment_wavefront_offset 0
		.amdhsa_system_sgpr_workgroup_id_x 1
		.amdhsa_system_sgpr_workgroup_id_y 0
		.amdhsa_system_sgpr_workgroup_id_z 0
		.amdhsa_system_sgpr_workgroup_info 0
		.amdhsa_system_vgpr_workitem_id 0
		.amdhsa_next_free_vgpr 27
		.amdhsa_next_free_sgpr 20
		.amdhsa_reserve_vcc 1
		.amdhsa_reserve_flat_scratch 0
		.amdhsa_float_round_mode_32 0
		.amdhsa_float_round_mode_16_64 0
		.amdhsa_float_denorm_mode_32 3
		.amdhsa_float_denorm_mode_16_64 3
		.amdhsa_dx10_clamp 1
		.amdhsa_ieee_mode 1
		.amdhsa_fp16_overflow 0
		.amdhsa_exception_fp_ieee_invalid_op 0
		.amdhsa_exception_fp_denorm_src 0
		.amdhsa_exception_fp_ieee_div_zero 0
		.amdhsa_exception_fp_ieee_overflow 0
		.amdhsa_exception_fp_ieee_underflow 0
		.amdhsa_exception_fp_ieee_inexact 0
		.amdhsa_exception_int_div_zero 0
	.end_amdhsa_kernel
	.text
.Lfunc_end0:
	.size	fft_rtc_fwd_len100_factors_5_5_4_wgs_100_tpt_25_half_op_CI_CI_sbrc_xy_z_diag_dirReg, .Lfunc_end0-fft_rtc_fwd_len100_factors_5_5_4_wgs_100_tpt_25_half_op_CI_CI_sbrc_xy_z_diag_dirReg
                                        ; -- End function
	.section	.AMDGPU.csdata,"",@progbits
; Kernel info:
; codeLenInByte = 2412
; NumSgprs: 24
; NumVgprs: 27
; ScratchSize: 0
; MemoryBound: 0
; FloatMode: 240
; IeeeMode: 1
; LDSByteSize: 0 bytes/workgroup (compile time only)
; SGPRBlocks: 2
; VGPRBlocks: 6
; NumSGPRsForWavesPerEU: 24
; NumVGPRsForWavesPerEU: 27
; Occupancy: 8
; WaveLimiterHint : 1
; COMPUTE_PGM_RSRC2:SCRATCH_EN: 0
; COMPUTE_PGM_RSRC2:USER_SGPR: 6
; COMPUTE_PGM_RSRC2:TRAP_HANDLER: 0
; COMPUTE_PGM_RSRC2:TGID_X_EN: 1
; COMPUTE_PGM_RSRC2:TGID_Y_EN: 0
; COMPUTE_PGM_RSRC2:TGID_Z_EN: 0
; COMPUTE_PGM_RSRC2:TIDIG_COMP_CNT: 0
	.type	__hip_cuid_44436e3ec470fe0f,@object ; @__hip_cuid_44436e3ec470fe0f
	.section	.bss,"aw",@nobits
	.globl	__hip_cuid_44436e3ec470fe0f
__hip_cuid_44436e3ec470fe0f:
	.byte	0                               ; 0x0
	.size	__hip_cuid_44436e3ec470fe0f, 1

	.ident	"AMD clang version 19.0.0git (https://github.com/RadeonOpenCompute/llvm-project roc-6.4.0 25133 c7fe45cf4b819c5991fe208aaa96edf142730f1d)"
	.section	".note.GNU-stack","",@progbits
	.addrsig
	.addrsig_sym __hip_cuid_44436e3ec470fe0f
	.amdgpu_metadata
---
amdhsa.kernels:
  - .args:
      - .actual_access:  read_only
        .address_space:  global
        .offset:         0
        .size:           8
        .value_kind:     global_buffer
      - .offset:         8
        .size:           8
        .value_kind:     by_value
      - .actual_access:  read_only
        .address_space:  global
        .offset:         16
        .size:           8
        .value_kind:     global_buffer
      - .actual_access:  read_only
        .address_space:  global
        .offset:         24
        .size:           8
        .value_kind:     global_buffer
      - .actual_access:  read_only
        .address_space:  global
        .offset:         32
        .size:           8
        .value_kind:     global_buffer
      - .offset:         40
        .size:           8
        .value_kind:     by_value
      - .actual_access:  read_only
        .address_space:  global
        .offset:         48
        .size:           8
        .value_kind:     global_buffer
      - .actual_access:  read_only
        .address_space:  global
        .offset:         56
        .size:           8
        .value_kind:     global_buffer
      - .offset:         64
        .size:           4
        .value_kind:     by_value
      - .actual_access:  read_only
        .address_space:  global
        .offset:         72
        .size:           8
        .value_kind:     global_buffer
      - .actual_access:  read_only
        .address_space:  global
        .offset:         80
        .size:           8
        .value_kind:     global_buffer
      - .actual_access:  read_only
        .address_space:  global
        .offset:         88
        .size:           8
        .value_kind:     global_buffer
      - .actual_access:  write_only
        .address_space:  global
        .offset:         96
        .size:           8
        .value_kind:     global_buffer
    .group_segment_fixed_size: 0
    .kernarg_segment_align: 8
    .kernarg_segment_size: 104
    .language:       OpenCL C
    .language_version:
      - 2
      - 0
    .max_flat_workgroup_size: 100
    .name:           fft_rtc_fwd_len100_factors_5_5_4_wgs_100_tpt_25_half_op_CI_CI_sbrc_xy_z_diag_dirReg
    .private_segment_fixed_size: 0
    .sgpr_count:     24
    .sgpr_spill_count: 0
    .symbol:         fft_rtc_fwd_len100_factors_5_5_4_wgs_100_tpt_25_half_op_CI_CI_sbrc_xy_z_diag_dirReg.kd
    .uniform_work_group_size: 1
    .uses_dynamic_stack: false
    .vgpr_count:     27
    .vgpr_spill_count: 0
    .wavefront_size: 64
amdhsa.target:   amdgcn-amd-amdhsa--gfx906
amdhsa.version:
  - 1
  - 2
...

	.end_amdgpu_metadata
